;; amdgpu-corpus repo=ROCm/rocFFT kind=compiled arch=gfx906 opt=O3
	.text
	.amdgcn_target "amdgcn-amd-amdhsa--gfx906"
	.amdhsa_code_object_version 6
	.protected	bluestein_single_fwd_len1225_dim1_dp_op_CI_CI ; -- Begin function bluestein_single_fwd_len1225_dim1_dp_op_CI_CI
	.globl	bluestein_single_fwd_len1225_dim1_dp_op_CI_CI
	.p2align	8
	.type	bluestein_single_fwd_len1225_dim1_dp_op_CI_CI,@function
bluestein_single_fwd_len1225_dim1_dp_op_CI_CI: ; @bluestein_single_fwd_len1225_dim1_dp_op_CI_CI
; %bb.0:
	s_load_dwordx4 s[8:11], s[4:5], 0x28
	v_mul_u32_u24_e32 v1, 0x177, v0
	v_add_u32_sdwa v142, s6, v1 dst_sel:DWORD dst_unused:UNUSED_PAD src0_sel:DWORD src1_sel:WORD_1
	v_mov_b32_e32 v143, 0
	s_waitcnt lgkmcnt(0)
	v_cmp_gt_u64_e32 vcc, s[8:9], v[142:143]
	s_and_saveexec_b64 s[0:1], vcc
	s_cbranch_execz .LBB0_23
; %bb.1:
	s_load_dwordx4 s[0:3], s[4:5], 0x18
	s_waitcnt lgkmcnt(0)
	s_load_dwordx4 s[12:15], s[0:1], 0x0
	s_movk_i32 s0, 0xaf
	v_mul_lo_u16_sdwa v1, v1, s0 dst_sel:DWORD dst_unused:UNUSED_PAD src0_sel:WORD_1 src1_sel:DWORD
	v_sub_u16_e32 v144, v0, v1
	v_lshlrev_b32_e32 v143, 4, v144
	s_waitcnt lgkmcnt(0)
	v_mad_u64_u32 v[0:1], s[0:1], s14, v142, 0
	v_mad_u64_u32 v[2:3], s[0:1], s12, v144, 0
	s_mul_i32 s6, s13, 0xf5
	s_mul_hi_u32 s7, s12, 0xf5
	v_mad_u64_u32 v[4:5], s[0:1], s15, v142, v[1:2]
	s_load_dwordx2 s[14:15], s[4:5], 0x0
	s_add_i32 s7, s7, s6
	v_mad_u64_u32 v[5:6], s[0:1], s13, v144, v[3:4]
	v_mov_b32_e32 v1, v4
	v_lshlrev_b64 v[0:1], 4, v[0:1]
	v_mov_b32_e32 v6, s11
	v_mov_b32_e32 v3, v5
	v_add_co_u32_e32 v4, vcc, s10, v0
	v_addc_co_u32_e32 v5, vcc, v6, v1, vcc
	v_lshlrev_b64 v[0:1], 4, v[2:3]
	s_waitcnt lgkmcnt(0)
	v_mov_b32_e32 v2, s15
	v_add_co_u32_e32 v0, vcc, v4, v0
	v_add_co_u32_e64 v140, s[0:1], s14, v143
	s_mul_i32 s6, s12, 0xf5
	v_addc_co_u32_e32 v1, vcc, v5, v1, vcc
	v_addc_co_u32_e64 v141, vcc, 0, v2, s[0:1]
	s_lshl_b64 s[16:17], s[6:7], 4
	v_mov_b32_e32 v6, s17
	v_add_co_u32_e32 v2, vcc, s16, v0
	v_addc_co_u32_e32 v3, vcc, v1, v6, vcc
	v_add_co_u32_e32 v4, vcc, s16, v2
	v_addc_co_u32_e32 v5, vcc, v3, v6, vcc
	s_movk_i32 s6, 0x1000
	v_add_co_u32_e32 v22, vcc, s6, v140
	v_addc_co_u32_e32 v23, vcc, 0, v141, vcc
	global_load_dwordx4 v[28:31], v[0:1], off
	global_load_dwordx4 v[32:35], v[2:3], off
	global_load_dwordx4 v[16:19], v143, s[14:15]
	global_load_dwordx4 v[8:11], v143, s[14:15] offset:3920
	global_load_dwordx4 v[36:39], v[4:5], off
	v_add_co_u32_e32 v4, vcc, s16, v4
	v_addc_co_u32_e32 v5, vcc, v5, v6, vcc
	s_movk_i32 s6, 0x2000
	v_add_co_u32_e32 v20, vcc, s6, v140
	v_addc_co_u32_e32 v21, vcc, 0, v141, vcc
	v_add_co_u32_e32 v26, vcc, s16, v4
	global_load_dwordx4 v[0:3], v[22:23], off offset:3744
	v_addc_co_u32_e32 v27, vcc, v5, v6, vcc
	s_movk_i32 s6, 0x3000
	global_load_dwordx4 v[40:43], v[4:5], off
	v_add_co_u32_e32 v24, vcc, s6, v140
	v_addc_co_u32_e32 v25, vcc, 0, v141, vcc
	global_load_dwordx4 v[4:7], v[20:21], off offset:3568
	global_load_dwordx4 v[12:15], v[24:25], off offset:3392
	global_load_dwordx4 v[44:47], v[26:27], off
	s_load_dwordx2 s[6:7], s[4:5], 0x38
	s_load_dwordx4 s[8:11], s[2:3], 0x0
	s_movk_i32 s14, 0x46
	v_cmp_gt_u16_e32 vcc, s14, v144
	s_waitcnt vmcnt(7)
	v_mul_f64 v[48:49], v[30:31], v[18:19]
	v_mul_f64 v[50:51], v[28:29], v[18:19]
	s_waitcnt vmcnt(6)
	v_mul_f64 v[52:53], v[34:35], v[10:11]
	v_mul_f64 v[54:55], v[32:33], v[10:11]
	v_fma_f64 v[28:29], v[28:29], v[16:17], v[48:49]
	v_fma_f64 v[30:31], v[30:31], v[16:17], -v[50:51]
	v_fma_f64 v[32:33], v[32:33], v[8:9], v[52:53]
	v_fma_f64 v[34:35], v[34:35], v[8:9], -v[54:55]
	s_waitcnt vmcnt(4)
	v_mul_f64 v[56:57], v[38:39], v[2:3]
	v_mul_f64 v[58:59], v[36:37], v[2:3]
	s_waitcnt vmcnt(2)
	v_mul_f64 v[60:61], v[42:43], v[6:7]
	v_mul_f64 v[62:63], v[40:41], v[6:7]
	;; [unrolled: 3-line block ×3, first 2 shown]
	v_fma_f64 v[36:37], v[36:37], v[0:1], v[56:57]
	v_fma_f64 v[38:39], v[38:39], v[0:1], -v[58:59]
	v_fma_f64 v[40:41], v[40:41], v[4:5], v[60:61]
	v_fma_f64 v[42:43], v[42:43], v[4:5], -v[62:63]
	;; [unrolled: 2-line block ×3, first 2 shown]
	ds_write_b128 v143, v[28:31]
	ds_write_b128 v143, v[32:35] offset:3920
	ds_write_b128 v143, v[36:39] offset:7840
	;; [unrolled: 1-line block ×4, first 2 shown]
	s_and_saveexec_b64 s[18:19], vcc
	s_cbranch_execz .LBB0_3
; %bb.2:
	v_mov_b32_e32 v28, 0xffffcdb0
	v_mad_u64_u32 v[30:31], s[2:3], s12, v28, v[26:27]
	s_mul_i32 s2, s13, 0xffffcdb0
	s_sub_i32 s2, s2, s12
	v_add_u32_e32 v31, s2, v31
	v_mov_b32_e32 v58, s17
	v_add_co_u32_e64 v42, s[2:3], s16, v30
	v_addc_co_u32_e64 v43, s[2:3], v31, v58, s[2:3]
	global_load_dwordx4 v[26:29], v[30:31], off
	s_nop 0
	global_load_dwordx4 v[30:33], v[42:43], off
	global_load_dwordx4 v[34:37], v[140:141], off offset:2800
	global_load_dwordx4 v[38:41], v[22:23], off offset:2624
	v_add_co_u32_e64 v22, s[2:3], s16, v42
	v_addc_co_u32_e64 v23, s[2:3], v43, v58, s[2:3]
	global_load_dwordx4 v[42:45], v[22:23], off
	v_add_co_u32_e64 v22, s[2:3], s16, v22
	v_addc_co_u32_e64 v23, s[2:3], v23, v58, s[2:3]
	global_load_dwordx4 v[46:49], v[22:23], off
	global_load_dwordx4 v[50:53], v[20:21], off offset:2448
	global_load_dwordx4 v[54:57], v[24:25], off offset:2272
	v_add_co_u32_e64 v24, s[2:3], s16, v22
	v_addc_co_u32_e64 v25, s[2:3], v23, v58, s[2:3]
	s_movk_i32 s2, 0x4000
	v_add_co_u32_e64 v62, s[2:3], s2, v140
	v_addc_co_u32_e64 v63, s[2:3], 0, v141, s[2:3]
	global_load_dwordx4 v[20:23], v[62:63], off offset:2096
	global_load_dwordx4 v[58:61], v[24:25], off
	s_waitcnt vmcnt(7)
	v_mul_f64 v[24:25], v[28:29], v[36:37]
	v_mul_f64 v[36:37], v[26:27], v[36:37]
	s_waitcnt vmcnt(6)
	v_mul_f64 v[62:63], v[32:33], v[40:41]
	v_mul_f64 v[40:41], v[30:31], v[40:41]
	;; [unrolled: 3-line block ×5, first 2 shown]
	v_fma_f64 v[22:23], v[26:27], v[34:35], v[24:25]
	v_fma_f64 v[24:25], v[28:29], v[34:35], -v[36:37]
	v_fma_f64 v[26:27], v[30:31], v[38:39], v[62:63]
	v_fma_f64 v[28:29], v[32:33], v[38:39], -v[40:41]
	;; [unrolled: 2-line block ×5, first 2 shown]
	ds_write_b128 v143, v[22:25] offset:2800
	ds_write_b128 v143, v[26:29] offset:6720
	;; [unrolled: 1-line block ×5, first 2 shown]
.LBB0_3:
	s_or_b64 exec, exec, s[18:19]
	s_waitcnt lgkmcnt(0)
	s_barrier
	ds_read_b128 v[56:59], v143
	ds_read_b128 v[40:43], v143 offset:3920
	ds_read_b128 v[44:47], v143 offset:7840
	;; [unrolled: 1-line block ×4, first 2 shown]
                                        ; implicit-def: $vgpr24_vgpr25
                                        ; implicit-def: $vgpr20_vgpr21
                                        ; implicit-def: $vgpr28_vgpr29
                                        ; implicit-def: $vgpr36_vgpr37
                                        ; implicit-def: $vgpr32_vgpr33
	s_and_saveexec_b64 s[2:3], vcc
	s_cbranch_execz .LBB0_5
; %bb.4:
	ds_read_b128 v[24:27], v143 offset:2800
	ds_read_b128 v[20:23], v143 offset:6720
	;; [unrolled: 1-line block ×5, first 2 shown]
.LBB0_5:
	s_or_b64 exec, exec, s[2:3]
	s_waitcnt lgkmcnt(1)
	v_add_f64 v[62:63], v[44:45], v[48:49]
	v_add_f64 v[60:61], v[56:57], v[40:41]
	s_waitcnt lgkmcnt(0)
	v_add_f64 v[64:65], v[42:43], -v[54:55]
	s_mov_b32 s16, 0x134454ff
	s_mov_b32 s17, 0x3fee6f0e
	v_add_f64 v[66:67], v[46:47], -v[50:51]
	v_add_f64 v[68:69], v[40:41], -v[44:45]
	;; [unrolled: 1-line block ×3, first 2 shown]
	v_fma_f64 v[62:63], v[62:63], -0.5, v[56:57]
	v_add_f64 v[60:61], v[60:61], v[44:45]
	v_add_f64 v[72:73], v[40:41], v[52:53]
	s_mov_b32 s12, 0x4755a5e
	s_mov_b32 s13, 0x3fe2cf23
	;; [unrolled: 1-line block ×4, first 2 shown]
	v_add_f64 v[68:69], v[68:69], v[70:71]
	v_fma_f64 v[74:75], v[64:65], s[16:17], v[62:63]
	v_add_f64 v[60:61], v[60:61], v[48:49]
	v_fma_f64 v[56:57], v[72:73], -0.5, v[56:57]
	v_fma_f64 v[62:63], v[64:65], s[20:21], v[62:63]
	v_add_f64 v[72:73], v[58:59], v[42:43]
	s_movk_i32 s2, 0xaf
	v_add_co_u32_e64 v92, s[2:3], s2, v144
	v_fma_f64 v[70:71], v[66:67], s[12:13], v[74:75]
	v_add_f64 v[74:75], v[46:47], v[50:51]
	s_mov_b32 s3, 0xbfe2cf23
	s_mov_b32 s2, s12
	v_add_f64 v[60:61], v[60:61], v[52:53]
	v_fma_f64 v[76:77], v[66:67], s[20:21], v[56:57]
	v_add_f64 v[78:79], v[44:45], -v[40:41]
	v_add_f64 v[80:81], v[48:49], -v[52:53]
	v_fma_f64 v[62:63], v[66:67], s[2:3], v[62:63]
	v_fma_f64 v[56:57], v[66:67], s[16:17], v[56:57]
	v_add_f64 v[66:67], v[72:73], v[46:47]
	v_fma_f64 v[72:73], v[74:75], -0.5, v[58:59]
	v_add_f64 v[52:53], v[40:41], -v[52:53]
	s_mov_b32 s18, 0x372fe950
	s_mov_b32 s19, 0x3fd3c6ef
	v_fma_f64 v[74:75], v[64:65], s[12:13], v[76:77]
	v_add_f64 v[78:79], v[78:79], v[80:81]
	v_fma_f64 v[40:41], v[68:69], s[18:19], v[70:71]
	v_fma_f64 v[76:77], v[68:69], s[18:19], v[62:63]
	;; [unrolled: 1-line block ×3, first 2 shown]
	v_add_f64 v[62:63], v[66:67], v[50:51]
	v_add_f64 v[64:65], v[42:43], v[54:55]
	v_fma_f64 v[66:67], v[52:53], s[20:21], v[72:73]
	v_add_f64 v[68:69], v[44:45], -v[48:49]
	v_add_f64 v[70:71], v[28:29], v[36:37]
	v_fma_f64 v[44:45], v[78:79], s[18:19], v[74:75]
	v_add_f64 v[74:75], v[42:43], -v[46:47]
	v_add_f64 v[80:81], v[54:55], -v[50:51]
	v_fma_f64 v[48:49], v[78:79], s[18:19], v[56:57]
	v_fma_f64 v[56:57], v[64:65], -0.5, v[58:59]
	v_add_f64 v[64:65], v[24:25], v[20:21]
	v_fma_f64 v[58:59], v[68:69], s[2:3], v[66:67]
	v_fma_f64 v[66:67], v[70:71], -0.5, v[24:25]
	v_add_f64 v[70:71], v[22:23], -v[34:35]
	v_fma_f64 v[72:73], v[52:53], s[16:17], v[72:73]
	v_add_f64 v[62:63], v[62:63], v[54:55]
	v_add_f64 v[74:75], v[74:75], v[80:81]
	v_fma_f64 v[78:79], v[68:69], s[16:17], v[56:57]
	v_add_f64 v[42:43], v[46:47], -v[42:43]
	v_add_f64 v[46:47], v[50:51], -v[54:55]
	v_fma_f64 v[50:51], v[68:69], s[20:21], v[56:57]
	v_add_f64 v[54:55], v[64:65], v[28:29]
	v_fma_f64 v[56:57], v[70:71], s[16:17], v[66:67]
	v_add_f64 v[64:65], v[30:31], -v[38:39]
	v_add_f64 v[80:81], v[20:21], -v[28:29]
	;; [unrolled: 1-line block ×3, first 2 shown]
	v_fma_f64 v[68:69], v[68:69], s[12:13], v[72:73]
	v_add_f64 v[72:73], v[20:21], v[32:33]
	v_fma_f64 v[84:85], v[52:53], s[2:3], v[78:79]
	v_add_f64 v[86:87], v[42:43], v[46:47]
	;; [unrolled: 2-line block ×4, first 2 shown]
	v_fma_f64 v[42:43], v[74:75], s[18:19], v[58:59]
	v_fma_f64 v[24:25], v[72:73], -0.5, v[24:25]
	v_add_f64 v[58:59], v[30:31], v[38:39]
	v_add_f64 v[72:73], v[22:23], v[34:35]
	v_fma_f64 v[78:79], v[74:75], s[18:19], v[68:69]
	v_add_f64 v[68:69], v[28:29], -v[20:21]
	v_add_f64 v[74:75], v[36:37], -v[32:33]
	v_fma_f64 v[56:57], v[80:81], s[18:19], v[54:55]
	v_fma_f64 v[54:55], v[70:71], s[20:21], v[66:67]
	;; [unrolled: 1-line block ×3, first 2 shown]
	v_add_f64 v[82:83], v[26:27], v[22:23]
	v_fma_f64 v[58:59], v[58:59], -0.5, v[26:27]
	v_add_f64 v[20:21], v[20:21], -v[32:33]
	v_add_f64 v[28:29], v[28:29], -v[36:37]
	v_fma_f64 v[26:27], v[72:73], -0.5, v[26:27]
	v_add_f64 v[52:53], v[52:53], v[32:33]
	v_fma_f64 v[32:33], v[64:65], s[2:3], v[54:55]
	v_fma_f64 v[54:55], v[70:71], s[12:13], v[66:67]
	v_add_f64 v[36:37], v[68:69], v[74:75]
	v_fma_f64 v[24:25], v[64:65], s[16:17], v[24:25]
	v_add_f64 v[64:65], v[82:83], v[30:31]
	v_fma_f64 v[66:67], v[20:21], s[20:21], v[58:59]
	v_add_f64 v[68:69], v[22:23], -v[30:31]
	v_add_f64 v[72:73], v[34:35], -v[38:39]
	v_fma_f64 v[58:59], v[20:21], s[16:17], v[58:59]
	v_fma_f64 v[74:75], v[28:29], s[16:17], v[26:27]
	v_add_f64 v[22:23], v[30:31], -v[22:23]
	v_add_f64 v[30:31], v[38:39], -v[34:35]
	v_fma_f64 v[26:27], v[28:29], s[20:21], v[26:27]
	v_fma_f64 v[24:25], v[70:71], s[2:3], v[24:25]
	v_add_f64 v[38:39], v[64:65], v[38:39]
	v_fma_f64 v[66:67], v[28:29], s[2:3], v[66:67]
	v_add_f64 v[70:71], v[68:69], v[72:73]
	v_fma_f64 v[28:29], v[28:29], s[12:13], v[58:59]
	v_fma_f64 v[82:83], v[20:21], s[2:3], v[74:75]
	v_add_f64 v[22:23], v[22:23], v[30:31]
	v_fma_f64 v[20:21], v[20:21], s[12:13], v[26:27]
	v_fma_f64 v[72:73], v[80:81], s[18:19], v[32:33]
	;; [unrolled: 1-line block ×4, first 2 shown]
	v_add_f64 v[54:55], v[38:39], v[34:35]
	v_fma_f64 v[58:59], v[70:71], s[18:19], v[66:67]
	v_fma_f64 v[74:75], v[70:71], s[18:19], v[28:29]
	v_fma_f64 v[66:67], v[22:23], s[18:19], v[82:83]
	v_fma_f64 v[70:71], v[22:23], s[18:19], v[20:21]
	v_fma_f64 v[46:47], v[86:87], s[18:19], v[84:85]
	s_load_dwordx2 s[4:5], s[4:5], 0x8
	v_fma_f64 v[50:51], v[86:87], s[18:19], v[50:51]
	v_mul_lo_u16_e32 v20, 5, v144
	v_lshlrev_b32_e32 v145, 4, v20
	v_mul_u32_u24_e32 v146, 5, v92
	s_waitcnt lgkmcnt(0)
	s_barrier
	ds_write_b128 v145, v[60:63]
	ds_write_b128 v145, v[40:43] offset:16
	ds_write_b128 v145, v[44:47] offset:32
	;; [unrolled: 1-line block ×4, first 2 shown]
	s_and_saveexec_b64 s[2:3], vcc
	s_cbranch_execz .LBB0_7
; %bb.6:
	v_lshlrev_b32_e32 v20, 4, v146
	ds_write_b128 v20, v[52:55]
	ds_write_b128 v20, v[56:59] offset:16
	ds_write_b128 v20, v[64:67] offset:32
	;; [unrolled: 1-line block ×4, first 2 shown]
.LBB0_7:
	s_or_b64 exec, exec, s[2:3]
	s_waitcnt lgkmcnt(0)
	s_barrier
	ds_read_b128 v[60:63], v143
	ds_read_b128 v[88:91], v143 offset:3920
	ds_read_b128 v[84:87], v143 offset:7840
	;; [unrolled: 1-line block ×4, first 2 shown]
	s_and_saveexec_b64 s[2:3], vcc
	s_cbranch_execz .LBB0_9
; %bb.8:
	ds_read_b128 v[52:55], v143 offset:2800
	ds_read_b128 v[56:59], v143 offset:6720
	;; [unrolled: 1-line block ×5, first 2 shown]
.LBB0_9:
	s_or_b64 exec, exec, s[2:3]
	s_movk_i32 s2, 0xcd
	v_mul_lo_u16_sdwa v20, v144, s2 dst_sel:DWORD dst_unused:UNUSED_PAD src0_sel:BYTE_0 src1_sel:DWORD
	v_lshrrev_b16_e32 v155, 10, v20
	v_mul_lo_u16_e32 v20, 5, v155
	v_sub_u16_e32 v20, v144, v20
	v_and_b32_e32 v156, 0xff, v20
	v_lshlrev_b32_e32 v20, 6, v156
	global_load_dwordx4 v[48:51], v20, s[4:5]
	global_load_dwordx4 v[44:47], v20, s[4:5] offset:16
	global_load_dwordx4 v[40:43], v20, s[4:5] offset:32
	;; [unrolled: 1-line block ×3, first 2 shown]
	s_mov_b32 s2, 0xcccd
	v_mul_u32_u24_sdwa v20, v92, s2 dst_sel:DWORD dst_unused:UNUSED_PAD src0_sel:WORD_0 src1_sel:DWORD
	v_lshrrev_b32_e32 v157, 18, v20
	v_mul_lo_u16_e32 v20, 5, v157
	v_sub_u16_e32 v158, v92, v20
	v_lshlrev_b16_e32 v20, 2, v158
	v_lshlrev_b32_e32 v92, 4, v20
	global_load_dwordx4 v[20:23], v92, s[4:5]
	global_load_dwordx4 v[28:31], v92, s[4:5] offset:16
	global_load_dwordx4 v[24:27], v92, s[4:5] offset:32
	;; [unrolled: 1-line block ×3, first 2 shown]
	s_mov_b32 s12, 0x134454ff
	s_mov_b32 s13, 0x3fee6f0e
	;; [unrolled: 1-line block ×9, first 2 shown]
	s_waitcnt vmcnt(0) lgkmcnt(0)
	s_barrier
	v_mul_f64 v[92:93], v[90:91], v[50:51]
	v_mul_f64 v[94:95], v[88:89], v[50:51]
	;; [unrolled: 1-line block ×13, first 2 shown]
	v_fma_f64 v[88:89], v[88:89], v[48:49], -v[92:93]
	v_fma_f64 v[90:91], v[90:91], v[48:49], v[94:95]
	v_fma_f64 v[84:85], v[84:85], v[44:45], -v[96:97]
	v_fma_f64 v[86:87], v[86:87], v[44:45], v[98:99]
	;; [unrolled: 2-line block ×4, first 2 shown]
	v_mul_f64 v[114:115], v[64:65], v[30:31]
	v_mul_f64 v[116:117], v[70:71], v[26:27]
	;; [unrolled: 1-line block ×3, first 2 shown]
	v_fma_f64 v[80:81], v[56:57], v[20:21], -v[108:109]
	v_fma_f64 v[82:83], v[58:59], v[20:21], v[110:111]
	v_fma_f64 v[76:77], v[64:65], v[28:29], -v[112:113]
	v_fma_f64 v[56:57], v[72:73], v[32:33], -v[120:121]
	v_fma_f64 v[64:65], v[74:75], v[32:33], v[122:123]
	v_add_f64 v[100:101], v[88:89], -v[84:85]
	v_add_f64 v[102:103], v[96:97], -v[92:93]
	;; [unrolled: 1-line block ×4, first 2 shown]
	v_add_f64 v[108:109], v[84:85], v[92:93]
	v_add_f64 v[110:111], v[86:87], v[94:95]
	v_add_f64 v[120:121], v[88:89], v[96:97]
	v_add_f64 v[122:123], v[90:91], v[98:99]
	v_add_f64 v[124:125], v[60:61], v[88:89]
	v_add_f64 v[126:127], v[62:63], v[90:91]
	v_fma_f64 v[78:79], v[66:67], v[28:29], v[114:115]
	v_fma_f64 v[58:59], v[68:69], v[24:25], -v[116:117]
	v_fma_f64 v[66:67], v[70:71], v[24:25], v[118:119]
	v_add_f64 v[112:113], v[90:91], -v[98:99]
	v_add_f64 v[114:115], v[86:87], -v[94:95]
	;; [unrolled: 1-line block ×6, first 2 shown]
	v_add_f64 v[100:101], v[100:101], v[102:103]
	v_add_f64 v[102:103], v[104:105], v[106:107]
	v_fma_f64 v[104:105], v[108:109], -0.5, v[60:61]
	v_fma_f64 v[106:107], v[110:111], -0.5, v[62:63]
	;; [unrolled: 1-line block ×4, first 2 shown]
	v_add_f64 v[84:85], v[124:125], v[84:85]
	v_add_f64 v[86:87], v[126:127], v[86:87]
	v_add_f64 v[128:129], v[92:93], -v[96:97]
	v_add_f64 v[130:131], v[94:95], -v[98:99]
	v_add_f64 v[147:148], v[80:81], v[56:57]
	v_add_f64 v[149:150], v[82:83], v[64:65]
	v_add_f64 v[68:69], v[78:79], -v[66:67]
	v_add_f64 v[72:73], v[76:77], -v[58:59]
	v_add_f64 v[84:85], v[84:85], v[92:93]
	v_add_f64 v[86:87], v[86:87], v[94:95]
	v_fma_f64 v[92:93], v[114:115], s[20:21], v[60:61]
	v_fma_f64 v[60:61], v[114:115], s[12:13], v[60:61]
	v_fma_f64 v[94:95], v[118:119], s[12:13], v[62:63]
	v_fma_f64 v[62:63], v[118:119], s[20:21], v[62:63]
	v_add_f64 v[151:152], v[76:77], v[58:59]
	v_add_f64 v[153:154], v[78:79], v[66:67]
	;; [unrolled: 1-line block ×4, first 2 shown]
	v_fma_f64 v[120:121], v[147:148], -0.5, v[52:53]
	v_fma_f64 v[122:123], v[149:150], -0.5, v[54:55]
	v_fma_f64 v[88:89], v[112:113], s[12:13], v[104:105]
	v_fma_f64 v[90:91], v[116:117], s[20:21], v[106:107]
	;; [unrolled: 1-line block ×6, first 2 shown]
	v_add_f64 v[132:133], v[76:77], -v[80:81]
	v_add_f64 v[134:135], v[58:59], -v[56:57]
	;; [unrolled: 1-line block ×6, first 2 shown]
	v_fma_f64 v[124:125], v[68:69], s[20:21], v[120:121]
	v_fma_f64 v[126:127], v[72:73], s[12:13], v[122:123]
	;; [unrolled: 1-line block ×6, first 2 shown]
	v_add_f64 v[88:89], v[84:85], v[96:97]
	v_add_f64 v[90:91], v[86:87], v[98:99]
	v_fma_f64 v[84:85], v[112:113], s[2:3], v[92:93]
	v_fma_f64 v[86:87], v[116:117], s[18:19], v[94:95]
	;; [unrolled: 1-line block ×4, first 2 shown]
	v_fma_f64 v[60:61], v[151:152], -0.5, v[52:53]
	v_fma_f64 v[62:63], v[153:154], -0.5, v[54:55]
	v_fma_f64 v[92:93], v[100:101], s[16:17], v[128:129]
	v_fma_f64 v[94:95], v[102:103], s[16:17], v[130:131]
	;; [unrolled: 1-line block ×6, first 2 shown]
	v_add_f64 v[104:105], v[132:133], v[134:135]
	v_add_f64 v[106:107], v[136:137], v[138:139]
	v_fma_f64 v[84:85], v[70:71], s[2:3], v[124:125]
	v_fma_f64 v[86:87], v[74:75], s[18:19], v[126:127]
	;; [unrolled: 1-line block ×4, first 2 shown]
	v_add_f64 v[108:109], v[80:81], -v[76:77]
	v_add_f64 v[110:111], v[56:57], -v[58:59]
	v_add_f64 v[120:121], v[82:83], -v[78:79]
	v_add_f64 v[122:123], v[64:65], -v[66:67]
	v_fma_f64 v[124:125], v[70:71], s[20:21], v[60:61]
	v_fma_f64 v[126:127], v[74:75], s[12:13], v[62:63]
	;; [unrolled: 1-line block ×6, first 2 shown]
	v_add_f64 v[84:85], v[108:109], v[110:111]
	v_add_f64 v[86:87], v[120:121], v[122:123]
	v_fma_f64 v[108:109], v[68:69], s[18:19], v[124:125]
	v_fma_f64 v[110:111], v[72:73], s[2:3], v[126:127]
	;; [unrolled: 1-line block ×4, first 2 shown]
	v_mul_u32_u24_e32 v120, 25, v155
	v_add_lshl_u32 v149, v120, v156, 4
	v_mad_legacy_u16 v147, v157, 25, v158
	ds_write_b128 v149, v[88:91]
	ds_write_b128 v149, v[92:95] offset:80
	ds_write_b128 v149, v[112:115] offset:160
	;; [unrolled: 1-line block ×4, first 2 shown]
	v_fma_f64 v[108:109], v[84:85], s[16:17], v[108:109]
	v_fma_f64 v[110:111], v[86:87], s[16:17], v[110:111]
	s_and_saveexec_b64 s[18:19], vcc
	s_cbranch_execz .LBB0_11
; %bb.10:
	v_add_f64 v[54:55], v[54:55], v[82:83]
	v_add_f64 v[52:53], v[52:53], v[80:81]
	v_mul_f64 v[74:75], v[74:75], s[12:13]
	v_mul_f64 v[70:71], v[70:71], s[12:13]
	v_mul_f64 v[68:69], v[68:69], s[2:3]
	v_mul_f64 v[72:73], v[72:73], s[2:3]
	v_add_f64 v[54:55], v[54:55], v[78:79]
	v_add_f64 v[52:53], v[52:53], v[76:77]
	v_add_f64 v[62:63], v[62:63], -v[74:75]
	v_add_f64 v[60:61], v[60:61], v[70:71]
	v_mul_f64 v[70:71], v[84:85], s[16:17]
	v_mul_f64 v[74:75], v[86:87], s[16:17]
	v_add_f64 v[66:67], v[54:55], v[66:67]
	v_add_f64 v[52:53], v[52:53], v[58:59]
	v_add_f64 v[62:63], v[62:63], -v[72:73]
	v_add_f64 v[60:61], v[68:69], v[60:61]
	v_add_f64 v[58:59], v[66:67], v[64:65]
	v_add_f64 v[56:57], v[52:53], v[56:57]
	v_add_f64 v[54:55], v[74:75], v[62:63]
	v_add_f64 v[52:53], v[70:71], v[60:61]
	v_lshlrev_b32_e32 v60, 4, v147
	ds_write_b128 v60, v[100:103] offset:160
	ds_write_b128 v60, v[104:107] offset:240
	ds_write_b128 v60, v[56:59]
	ds_write_b128 v60, v[52:55] offset:80
	ds_write_b128 v60, v[108:111] offset:320
.LBB0_11:
	s_or_b64 exec, exec, s[18:19]
	v_mov_b32_e32 v52, 41
	v_mul_lo_u16_sdwa v52, v144, v52 dst_sel:DWORD dst_unused:UNUSED_PAD src0_sel:BYTE_0 src1_sel:DWORD
	v_lshrrev_b16_e32 v118, 10, v52
	v_mul_lo_u16_e32 v52, 25, v118
	v_sub_u16_e32 v52, v144, v52
	v_mov_b32_e32 v117, s5
	v_and_b32_e32 v119, 0xff, v52
	s_movk_i32 s14, 0x60
	v_mov_b32_e32 v116, s4
	v_mad_u64_u32 v[76:77], s[2:3], v119, s14, v[116:117]
	s_waitcnt lgkmcnt(0)
	s_barrier
	global_load_dwordx4 v[64:67], v[76:77], off offset:320
	global_load_dwordx4 v[60:63], v[76:77], off offset:336
	;; [unrolled: 1-line block ×6, first 2 shown]
	ds_read_b128 v[76:79], v143
	ds_read_b128 v[80:83], v143 offset:2800
	ds_read_b128 v[84:87], v143 offset:5600
	ds_read_b128 v[88:91], v143 offset:8400
	ds_read_b128 v[92:95], v143 offset:11200
	ds_read_b128 v[96:99], v143 offset:14000
	ds_read_b128 v[112:115], v143 offset:16800
	v_mul_u32_u24_e32 v118, 0xaf, v118
	v_add_lshl_u32 v148, v118, v119, 4
	s_mov_b32 s4, 0x37e14327
	s_mov_b32 s2, 0x36b3c0b5
	;; [unrolled: 1-line block ×20, first 2 shown]
	s_waitcnt vmcnt(0) lgkmcnt(0)
	s_barrier
	s_mov_b32 s33, 0x8000
	v_mul_f64 v[118:119], v[82:83], v[66:67]
	v_mul_f64 v[120:121], v[80:81], v[66:67]
	;; [unrolled: 1-line block ×12, first 2 shown]
	v_fma_f64 v[80:81], v[80:81], v[64:65], -v[118:119]
	v_fma_f64 v[82:83], v[82:83], v[64:65], v[120:121]
	v_fma_f64 v[84:85], v[84:85], v[60:61], -v[122:123]
	v_fma_f64 v[86:87], v[86:87], v[60:61], v[124:125]
	;; [unrolled: 2-line block ×6, first 2 shown]
	v_add_f64 v[118:119], v[80:81], v[112:113]
	v_add_f64 v[120:121], v[82:83], v[114:115]
	v_add_f64 v[80:81], v[80:81], -v[112:113]
	v_add_f64 v[82:83], v[82:83], -v[114:115]
	v_add_f64 v[112:113], v[84:85], v[96:97]
	v_add_f64 v[114:115], v[86:87], v[98:99]
	v_add_f64 v[84:85], v[84:85], -v[96:97]
	v_add_f64 v[86:87], v[86:87], -v[98:99]
	;; [unrolled: 4-line block ×4, first 2 shown]
	v_add_f64 v[118:119], v[118:119], -v[96:97]
	v_add_f64 v[120:121], v[120:121], -v[98:99]
	;; [unrolled: 1-line block ×4, first 2 shown]
	v_add_f64 v[126:127], v[88:89], v[84:85]
	v_add_f64 v[128:129], v[90:91], v[86:87]
	v_add_f64 v[130:131], v[88:89], -v[84:85]
	v_add_f64 v[132:133], v[90:91], -v[86:87]
	v_add_f64 v[92:93], v[96:97], v[92:93]
	v_add_f64 v[94:95], v[98:99], v[94:95]
	v_add_f64 v[84:85], v[84:85], -v[80:81]
	v_add_f64 v[86:87], v[86:87], -v[82:83]
	;; [unrolled: 1-line block ×4, first 2 shown]
	v_add_f64 v[80:81], v[126:127], v[80:81]
	v_add_f64 v[82:83], v[128:129], v[82:83]
	v_mul_f64 v[96:97], v[118:119], s[4:5]
	v_mul_f64 v[98:99], v[120:121], s[4:5]
	;; [unrolled: 1-line block ×6, first 2 shown]
	v_add_f64 v[76:77], v[76:77], v[92:93]
	v_add_f64 v[78:79], v[78:79], v[94:95]
	v_mul_f64 v[130:131], v[84:85], s[12:13]
	v_mul_f64 v[132:133], v[86:87], s[12:13]
	v_fma_f64 v[112:113], v[112:113], s[2:3], v[96:97]
	v_fma_f64 v[114:115], v[114:115], s[2:3], v[98:99]
	v_fma_f64 v[118:119], v[122:123], s[20:21], -v[118:119]
	v_fma_f64 v[120:121], v[124:125], s[20:21], -v[120:121]
	;; [unrolled: 1-line block ×4, first 2 shown]
	v_fma_f64 v[122:123], v[88:89], s[24:25], v[126:127]
	v_fma_f64 v[124:125], v[90:91], s[24:25], v[128:129]
	v_fma_f64 v[92:93], v[92:93], s[16:17], v[76:77]
	v_fma_f64 v[94:95], v[94:95], s[16:17], v[78:79]
	v_fma_f64 v[88:89], v[88:89], s[26:27], -v[130:131]
	v_fma_f64 v[90:91], v[90:91], s[26:27], -v[132:133]
	;; [unrolled: 1-line block ×4, first 2 shown]
	v_fma_f64 v[122:123], v[80:81], s[28:29], v[122:123]
	v_fma_f64 v[124:125], v[82:83], s[28:29], v[124:125]
	v_add_f64 v[112:113], v[112:113], v[92:93]
	v_add_f64 v[114:115], v[114:115], v[94:95]
	v_fma_f64 v[130:131], v[80:81], s[28:29], v[88:89]
	v_fma_f64 v[132:133], v[82:83], s[28:29], v[90:91]
	v_add_f64 v[96:97], v[96:97], v[92:93]
	v_add_f64 v[98:99], v[98:99], v[94:95]
	;; [unrolled: 4-line block ×3, first 2 shown]
	v_add_f64 v[80:81], v[124:125], v[112:113]
	v_add_f64 v[82:83], v[114:115], -v[122:123]
	v_add_f64 v[84:85], v[132:133], v[96:97]
	v_add_f64 v[86:87], v[98:99], -v[130:131]
	v_add_f64 v[96:97], v[96:97], -v[132:133]
	v_add_f64 v[98:99], v[130:131], v[98:99]
	v_add_f64 v[88:89], v[92:93], -v[128:129]
	v_add_f64 v[90:91], v[126:127], v[94:95]
	v_add_f64 v[92:93], v[128:129], v[92:93]
	v_add_f64 v[94:95], v[94:95], -v[126:127]
	v_add_f64 v[112:113], v[112:113], -v[124:125]
	v_add_f64 v[114:115], v[122:123], v[114:115]
	ds_write_b128 v148, v[76:79]
	ds_write_b128 v148, v[80:83] offset:400
	ds_write_b128 v148, v[84:87] offset:800
	;; [unrolled: 1-line block ×6, first 2 shown]
	v_mad_u64_u32 v[112:113], s[30:31], v144, s14, v[116:117]
	s_waitcnt lgkmcnt(0)
	s_barrier
	global_load_dwordx4 v[88:91], v[112:113], off offset:2720
	global_load_dwordx4 v[84:87], v[112:113], off offset:2736
	;; [unrolled: 1-line block ×6, first 2 shown]
	v_mov_b32_e32 v112, s15
	v_addc_co_u32_e64 v174, s[0:1], 0, v112, s[0:1]
	ds_read_b128 v[112:115], v143
	ds_read_b128 v[116:119], v143 offset:2800
	ds_read_b128 v[120:123], v143 offset:5600
	;; [unrolled: 1-line block ×6, first 2 shown]
	s_movk_i32 s14, 0x4000
	s_movk_i32 s15, 0x4c90
	;; [unrolled: 1-line block ×4, first 2 shown]
	s_waitcnt vmcnt(5) lgkmcnt(5)
	v_mul_f64 v[150:151], v[118:119], v[90:91]
	v_mul_f64 v[152:153], v[116:117], v[90:91]
	s_waitcnt vmcnt(4) lgkmcnt(4)
	v_mul_f64 v[154:155], v[122:123], v[86:87]
	v_mul_f64 v[156:157], v[120:121], v[86:87]
	;; [unrolled: 3-line block ×3, first 2 shown]
	s_waitcnt vmcnt(0)
	v_mul_f64 v[170:171], v[134:135], v[98:99]
	v_mul_f64 v[172:173], v[132:133], v[98:99]
	;; [unrolled: 1-line block ×6, first 2 shown]
	v_fma_f64 v[116:117], v[116:117], v[88:89], -v[150:151]
	v_fma_f64 v[118:119], v[118:119], v[88:89], v[152:153]
	v_fma_f64 v[120:121], v[120:121], v[84:85], -v[154:155]
	v_fma_f64 v[122:123], v[122:123], v[84:85], v[156:157]
	;; [unrolled: 2-line block ×6, first 2 shown]
	v_add_f64 v[150:151], v[116:117], v[136:137]
	v_add_f64 v[152:153], v[118:119], v[138:139]
	v_add_f64 v[116:117], v[116:117], -v[136:137]
	v_add_f64 v[118:119], v[118:119], -v[138:139]
	v_add_f64 v[136:137], v[120:121], v[132:133]
	v_add_f64 v[138:139], v[122:123], v[134:135]
	v_add_f64 v[120:121], v[120:121], -v[132:133]
	v_add_f64 v[122:123], v[122:123], -v[134:135]
	;; [unrolled: 4-line block ×4, first 2 shown]
	v_add_f64 v[150:151], v[150:151], -v[132:133]
	v_add_f64 v[152:153], v[152:153], -v[134:135]
	;; [unrolled: 1-line block ×4, first 2 shown]
	v_add_f64 v[158:159], v[124:125], v[120:121]
	v_add_f64 v[160:161], v[126:127], v[122:123]
	v_add_f64 v[162:163], v[124:125], -v[120:121]
	v_add_f64 v[164:165], v[126:127], -v[122:123]
	v_add_f64 v[120:121], v[120:121], -v[116:117]
	v_add_f64 v[128:129], v[132:133], v[128:129]
	v_add_f64 v[130:131], v[134:135], v[130:131]
	v_add_f64 v[168:169], v[122:123], -v[118:119]
	v_add_f64 v[166:167], v[116:117], -v[124:125]
	;; [unrolled: 1-line block ×3, first 2 shown]
	v_add_f64 v[116:117], v[158:159], v[116:117]
	v_add_f64 v[118:119], v[160:161], v[118:119]
	v_mul_f64 v[132:133], v[150:151], s[4:5]
	v_mul_f64 v[134:135], v[152:153], s[4:5]
	;; [unrolled: 1-line block ×7, first 2 shown]
	v_add_f64 v[122:123], v[112:113], v[128:129]
	v_add_f64 v[124:125], v[114:115], v[130:131]
	v_mul_f64 v[164:165], v[168:169], s[12:13]
	v_fma_f64 v[112:113], v[136:137], s[2:3], v[132:133]
	v_fma_f64 v[114:115], v[138:139], s[2:3], v[134:135]
	v_fma_f64 v[136:137], v[154:155], s[20:21], -v[150:151]
	v_fma_f64 v[138:139], v[156:157], s[20:21], -v[152:153]
	v_fma_f64 v[132:133], v[154:155], s[22:23], -v[132:133]
	v_fma_f64 v[134:135], v[156:157], s[22:23], -v[134:135]
	v_fma_f64 v[150:151], v[166:167], s[24:25], v[158:159]
	v_fma_f64 v[152:153], v[126:127], s[24:25], v[160:161]
	v_fma_f64 v[120:121], v[120:121], s[12:13], -v[158:159]
	v_fma_f64 v[154:155], v[168:169], s[12:13], -v[160:161]
	;; [unrolled: 1-line block ×3, first 2 shown]
	v_fma_f64 v[128:129], v[128:129], s[16:17], v[122:123]
	v_fma_f64 v[130:131], v[130:131], s[16:17], v[124:125]
	v_fma_f64 v[126:127], v[126:127], s[26:27], -v[164:165]
	v_fma_f64 v[158:159], v[116:117], s[28:29], v[150:151]
	v_fma_f64 v[160:161], v[118:119], s[28:29], v[152:153]
	;; [unrolled: 1-line block ×5, first 2 shown]
	v_add_f64 v[154:155], v[112:113], v[128:129]
	v_add_f64 v[156:157], v[114:115], v[130:131]
	v_fma_f64 v[118:119], v[118:119], s[28:29], v[126:127]
	v_add_f64 v[112:113], v[132:133], v[128:129]
	v_add_f64 v[114:115], v[134:135], v[130:131]
	;; [unrolled: 1-line block ×4, first 2 shown]
	v_add_co_u32_e64 v162, s[0:1], s14, v140
	v_add_f64 v[126:127], v[160:161], v[154:155]
	v_add_f64 v[128:129], v[156:157], -v[158:159]
	v_add_f64 v[130:131], v[118:119], v[112:113]
	v_add_f64 v[132:133], v[114:115], -v[116:117]
	v_add_f64 v[134:135], v[152:153], -v[150:151]
	v_add_f64 v[136:137], v[120:121], v[138:139]
	v_add_f64 v[150:151], v[150:151], v[152:153]
	v_add_f64 v[152:153], v[138:139], -v[120:121]
	v_addc_co_u32_e64 v163, s[0:1], 0, v174, s[0:1]
	v_add_f64 v[112:113], v[112:113], -v[118:119]
	v_add_f64 v[114:115], v[116:117], v[114:115]
	v_add_f64 v[116:117], v[154:155], -v[160:161]
	v_add_f64 v[118:119], v[158:159], v[156:157]
	v_add_co_u32_e64 v120, s[0:1], s15, v140
	v_addc_co_u32_e64 v121, s[0:1], 0, v174, s[0:1]
	ds_write_b128 v143, v[122:125]
	ds_write_b128 v143, v[126:129] offset:2800
	ds_write_b128 v143, v[130:133] offset:5600
	;; [unrolled: 1-line block ×6, first 2 shown]
	v_add_co_u32_e64 v130, s[0:1], s30, v140
	v_addc_co_u32_e64 v131, s[0:1], 0, v174, s[0:1]
	v_add_co_u32_e64 v134, s[0:1], s31, v140
	s_waitcnt lgkmcnt(0)
	s_barrier
	global_load_dwordx4 v[122:125], v[162:163], off offset:3216
	global_load_dwordx4 v[126:129], v[120:121], off offset:3920
	v_addc_co_u32_e64 v135, s[0:1], 0, v174, s[0:1]
	v_add_co_u32_e64 v138, s[0:1], s33, v140
	global_load_dwordx4 v[130:133], v[130:131], off offset:2864
	s_nop 0
	global_load_dwordx4 v[134:137], v[134:135], off offset:2688
	v_addc_co_u32_e64 v139, s[0:1], 0, v174, s[0:1]
	global_load_dwordx4 v[150:153], v[138:139], off offset:2512
	ds_read_b128 v[154:157], v143
	ds_read_b128 v[158:161], v143 offset:3920
	ds_read_b128 v[162:165], v143 offset:7840
	ds_read_b128 v[166:169], v143 offset:11760
	ds_read_b128 v[170:173], v143 offset:15680
	s_waitcnt vmcnt(4) lgkmcnt(4)
	v_mul_f64 v[138:139], v[156:157], v[124:125]
	v_mul_f64 v[124:125], v[154:155], v[124:125]
	s_waitcnt vmcnt(3) lgkmcnt(3)
	v_mul_f64 v[174:175], v[160:161], v[128:129]
	v_mul_f64 v[128:129], v[158:159], v[128:129]
	;; [unrolled: 3-line block ×5, first 2 shown]
	v_fma_f64 v[136:137], v[154:155], v[122:123], -v[138:139]
	v_fma_f64 v[138:139], v[156:157], v[122:123], v[124:125]
	v_fma_f64 v[122:123], v[158:159], v[126:127], -v[174:175]
	v_fma_f64 v[124:125], v[160:161], v[126:127], v[128:129]
	;; [unrolled: 2-line block ×5, first 2 shown]
	ds_write_b128 v143, v[136:139]
	ds_write_b128 v143, v[122:125] offset:3920
	ds_write_b128 v143, v[126:129] offset:7840
	;; [unrolled: 1-line block ×4, first 2 shown]
	s_and_saveexec_b64 s[2:3], vcc
	s_cbranch_execz .LBB0_13
; %bb.12:
	s_movk_i32 s0, 0x1000
	v_add_co_u32_e64 v126, s[0:1], s0, v120
	v_addc_co_u32_e64 v127, s[0:1], 0, v121, s[0:1]
	s_movk_i32 s0, 0x2000
	v_add_co_u32_e64 v130, s[0:1], s0, v120
	v_addc_co_u32_e64 v131, s[0:1], 0, v121, s[0:1]
	v_add_co_u32_e64 v134, s[0:1], s14, v120
	v_addc_co_u32_e64 v135, s[0:1], 0, v121, s[0:1]
	s_movk_i32 s0, 0x3000
	global_load_dwordx4 v[122:125], v[120:121], off offset:2800
	s_nop 0
	global_load_dwordx4 v[126:129], v[126:127], off offset:2624
	v_add_co_u32_e64 v120, s[0:1], s0, v120
	global_load_dwordx4 v[134:137], v[134:135], off offset:2096
	v_addc_co_u32_e64 v121, s[0:1], 0, v121, s[0:1]
	global_load_dwordx4 v[130:133], v[130:131], off offset:2448
	s_nop 0
	global_load_dwordx4 v[150:153], v[120:121], off offset:2272
	ds_read_b128 v[154:157], v143 offset:2800
	ds_read_b128 v[158:161], v143 offset:6720
	ds_read_b128 v[162:165], v143 offset:18480
	ds_read_b128 v[166:169], v143 offset:10640
	ds_read_b128 v[170:173], v143 offset:14560
	s_waitcnt vmcnt(4) lgkmcnt(4)
	v_mul_f64 v[120:121], v[156:157], v[124:125]
	v_mul_f64 v[124:125], v[154:155], v[124:125]
	s_waitcnt vmcnt(2) lgkmcnt(2)
	v_mul_f64 v[138:139], v[164:165], v[136:137]
	v_mul_f64 v[174:175], v[162:163], v[136:137]
	;; [unrolled: 1-line block ×4, first 2 shown]
	s_waitcnt vmcnt(1) lgkmcnt(1)
	v_mul_f64 v[176:177], v[168:169], v[132:133]
	v_mul_f64 v[132:133], v[166:167], v[132:133]
	s_waitcnt vmcnt(0) lgkmcnt(0)
	v_mul_f64 v[178:179], v[172:173], v[152:153]
	v_mul_f64 v[180:181], v[170:171], v[152:153]
	v_fma_f64 v[120:121], v[154:155], v[122:123], -v[120:121]
	v_fma_f64 v[122:123], v[156:157], v[122:123], v[124:125]
	v_fma_f64 v[124:125], v[162:163], v[134:135], -v[138:139]
	v_fma_f64 v[136:137], v[158:159], v[126:127], -v[136:137]
	v_fma_f64 v[138:139], v[160:161], v[126:127], v[128:129]
	v_fma_f64 v[128:129], v[166:167], v[130:131], -v[176:177]
	v_fma_f64 v[130:131], v[168:169], v[130:131], v[132:133]
	;; [unrolled: 2-line block ×3, first 2 shown]
	v_fma_f64 v[126:127], v[164:165], v[134:135], v[174:175]
	ds_write_b128 v143, v[120:123] offset:2800
	ds_write_b128 v143, v[136:139] offset:6720
	;; [unrolled: 1-line block ×5, first 2 shown]
.LBB0_13:
	s_or_b64 exec, exec, s[2:3]
	s_waitcnt lgkmcnt(0)
	s_barrier
	ds_read_b128 v[136:139], v143
	ds_read_b128 v[120:123], v143 offset:3920
	ds_read_b128 v[124:127], v143 offset:7840
	ds_read_b128 v[128:131], v143 offset:11760
	ds_read_b128 v[132:135], v143 offset:15680
	s_and_saveexec_b64 s[0:1], vcc
	s_cbranch_execz .LBB0_15
; %bb.14:
	ds_read_b128 v[112:115], v143 offset:2800
	ds_read_b128 v[116:119], v143 offset:6720
	;; [unrolled: 1-line block ×5, first 2 shown]
.LBB0_15:
	s_or_b64 exec, exec, s[0:1]
	s_waitcnt lgkmcnt(3)
	v_add_f64 v[150:151], v[136:137], v[120:121]
	s_waitcnt lgkmcnt(1)
	v_add_f64 v[152:153], v[124:125], v[128:129]
	s_waitcnt lgkmcnt(0)
	v_add_f64 v[154:155], v[122:123], -v[134:135]
	v_add_f64 v[160:161], v[120:121], v[132:133]
	s_mov_b32 s2, 0x134454ff
	s_mov_b32 s3, 0xbfee6f0e
	s_mov_b32 s15, 0x3fee6f0e
	s_mov_b32 s14, s2
	v_add_f64 v[150:151], v[150:151], v[124:125]
	v_fma_f64 v[152:153], v[152:153], -0.5, v[136:137]
	v_add_f64 v[156:157], v[126:127], -v[130:131]
	v_add_f64 v[158:159], v[120:121], -v[124:125]
	;; [unrolled: 1-line block ×3, first 2 shown]
	v_fma_f64 v[160:161], v[160:161], -0.5, v[136:137]
	s_mov_b32 s0, 0x4755a5e
	s_mov_b32 s1, 0xbfe2cf23
	v_add_f64 v[150:151], v[150:151], v[128:129]
	v_fma_f64 v[164:165], v[154:155], s[2:3], v[152:153]
	v_fma_f64 v[152:153], v[154:155], s[14:15], v[152:153]
	s_mov_b32 s13, 0x3fe2cf23
	s_mov_b32 s12, s0
	v_add_f64 v[158:159], v[158:159], v[162:163]
	v_add_f64 v[162:163], v[138:139], v[122:123]
	v_fma_f64 v[166:167], v[156:157], s[14:15], v[160:161]
	v_add_f64 v[136:137], v[150:151], v[132:133]
	v_fma_f64 v[150:151], v[156:157], s[0:1], v[164:165]
	v_add_f64 v[164:165], v[126:127], v[130:131]
	v_add_f64 v[168:169], v[124:125], -v[120:121]
	v_add_f64 v[170:171], v[128:129], -v[132:133]
	v_fma_f64 v[152:153], v[156:157], s[12:13], v[152:153]
	v_fma_f64 v[156:157], v[156:157], s[2:3], v[160:161]
	s_mov_b32 s4, 0x372fe950
	s_mov_b32 s5, 0x3fd3c6ef
	v_add_f64 v[160:161], v[162:163], v[126:127]
	v_fma_f64 v[162:163], v[164:165], -0.5, v[138:139]
	v_add_f64 v[120:121], v[120:121], -v[132:133]
	v_fma_f64 v[164:165], v[154:155], s[0:1], v[166:167]
	v_add_f64 v[166:167], v[168:169], v[170:171]
	v_fma_f64 v[132:133], v[158:159], s[4:5], v[150:151]
	v_fma_f64 v[150:151], v[158:159], s[4:5], v[152:153]
	;; [unrolled: 1-line block ×3, first 2 shown]
	v_add_f64 v[156:157], v[122:123], v[134:135]
	v_add_f64 v[154:155], v[160:161], v[130:131]
	v_fma_f64 v[158:159], v[120:121], s[14:15], v[162:163]
	v_add_f64 v[160:161], v[124:125], -v[128:129]
	v_fma_f64 v[124:125], v[166:167], s[4:5], v[164:165]
	v_add_f64 v[164:165], v[100:101], v[104:105]
	v_add_f64 v[168:169], v[122:123], -v[126:127]
	v_add_f64 v[170:171], v[134:135], -v[130:131]
	v_fma_f64 v[128:129], v[166:167], s[4:5], v[152:153]
	v_fma_f64 v[152:153], v[156:157], -0.5, v[138:139]
	v_add_f64 v[138:139], v[154:155], v[134:135]
	v_fma_f64 v[154:155], v[160:161], s[12:13], v[158:159]
	v_add_f64 v[156:157], v[112:113], v[116:117]
	v_fma_f64 v[158:159], v[164:165], -0.5, v[112:113]
	v_add_f64 v[164:165], v[118:119], -v[110:111]
	v_add_f64 v[166:167], v[168:169], v[170:171]
	v_fma_f64 v[162:163], v[120:121], s[2:3], v[162:163]
	v_fma_f64 v[168:169], v[160:161], s[2:3], v[152:153]
	v_add_f64 v[122:123], v[126:127], -v[122:123]
	v_add_f64 v[126:127], v[130:131], -v[134:135]
	v_fma_f64 v[130:131], v[160:161], s[14:15], v[152:153]
	v_add_f64 v[134:135], v[156:157], v[100:101]
	v_fma_f64 v[152:153], v[164:165], s[2:3], v[158:159]
	v_add_f64 v[156:157], v[102:103], -v[106:107]
	v_fma_f64 v[160:161], v[160:161], s[0:1], v[162:163]
	v_add_f64 v[162:163], v[116:117], v[108:109]
	v_fma_f64 v[168:169], v[120:121], s[12:13], v[168:169]
	v_add_f64 v[122:123], v[122:123], v[126:127]
	v_fma_f64 v[120:121], v[120:121], s[0:1], v[130:131]
	v_add_f64 v[170:171], v[116:117], -v[100:101]
	v_add_f64 v[172:173], v[108:109], -v[104:105]
	v_add_f64 v[174:175], v[134:135], v[104:105]
	v_fma_f64 v[176:177], v[156:157], s[0:1], v[152:153]
	v_fma_f64 v[134:135], v[166:167], s[4:5], v[154:155]
	v_fma_f64 v[154:155], v[162:163], -0.5, v[112:113]
	v_fma_f64 v[152:153], v[166:167], s[4:5], v[160:161]
	v_fma_f64 v[126:127], v[122:123], s[4:5], v[168:169]
	;; [unrolled: 1-line block ×3, first 2 shown]
	v_add_f64 v[122:123], v[102:103], v[106:107]
	v_add_f64 v[166:167], v[118:119], v[110:111]
	;; [unrolled: 1-line block ×4, first 2 shown]
	v_fma_f64 v[158:159], v[164:165], s[14:15], v[158:159]
	v_fma_f64 v[160:161], v[156:157], s[14:15], v[154:155]
	v_add_f64 v[162:163], v[100:101], -v[116:117]
	v_add_f64 v[168:169], v[104:105], -v[108:109]
	v_add_f64 v[172:173], v[114:115], v[118:119]
	v_fma_f64 v[122:123], v[122:123], -0.5, v[114:115]
	v_add_f64 v[108:109], v[116:117], -v[108:109]
	v_add_f64 v[100:101], v[100:101], -v[104:105]
	v_fma_f64 v[104:105], v[166:167], -0.5, v[114:115]
	v_fma_f64 v[116:117], v[156:157], s[12:13], v[158:159]
	v_fma_f64 v[158:159], v[164:165], s[0:1], v[160:161]
	v_add_f64 v[114:115], v[162:163], v[168:169]
	v_fma_f64 v[154:155], v[156:157], s[2:3], v[154:155]
	v_add_f64 v[156:157], v[172:173], v[102:103]
	v_fma_f64 v[160:161], v[108:109], s[14:15], v[122:123]
	v_add_f64 v[162:163], v[118:119], -v[102:103]
	v_add_f64 v[166:167], v[110:111], -v[106:107]
	v_fma_f64 v[122:123], v[108:109], s[2:3], v[122:123]
	v_fma_f64 v[168:169], v[100:101], s[2:3], v[104:105]
	v_add_f64 v[102:103], v[102:103], -v[118:119]
	v_add_f64 v[118:119], v[106:107], -v[110:111]
	v_fma_f64 v[104:105], v[100:101], s[14:15], v[104:105]
	v_fma_f64 v[154:155], v[164:165], s[12:13], v[154:155]
	v_add_f64 v[106:107], v[156:157], v[106:107]
	v_fma_f64 v[156:157], v[100:101], s[12:13], v[160:161]
	v_add_f64 v[160:161], v[162:163], v[166:167]
	v_fma_f64 v[162:163], v[100:101], s[0:1], v[122:123]
	v_fma_f64 v[164:165], v[108:109], s[12:13], v[168:169]
	v_add_f64 v[118:119], v[102:103], v[118:119]
	v_fma_f64 v[166:167], v[108:109], s[0:1], v[104:105]
	v_fma_f64 v[120:121], v[170:171], s[4:5], v[176:177]
	;; [unrolled: 1-line block ×5, first 2 shown]
	v_add_f64 v[114:115], v[106:107], v[110:111]
	v_fma_f64 v[122:123], v[160:161], s[4:5], v[156:157]
	v_fma_f64 v[110:111], v[160:161], s[4:5], v[162:163]
	;; [unrolled: 1-line block ×4, first 2 shown]
	s_barrier
	ds_write_b128 v145, v[136:139]
	ds_write_b128 v145, v[132:135] offset:16
	ds_write_b128 v145, v[124:127] offset:32
	;; [unrolled: 1-line block ×4, first 2 shown]
	s_and_saveexec_b64 s[0:1], vcc
	s_cbranch_execz .LBB0_17
; %bb.16:
	v_lshlrev_b32_e32 v116, 4, v146
	ds_write_b128 v116, v[112:115]
	ds_write_b128 v116, v[120:123] offset:16
	ds_write_b128 v116, v[100:103] offset:32
	;; [unrolled: 1-line block ×4, first 2 shown]
.LBB0_17:
	s_or_b64 exec, exec, s[0:1]
	s_waitcnt lgkmcnt(0)
	s_barrier
	ds_read_b128 v[116:119], v143
	ds_read_b128 v[136:139], v143 offset:3920
	ds_read_b128 v[124:127], v143 offset:7840
	;; [unrolled: 1-line block ×4, first 2 shown]
	s_and_saveexec_b64 s[0:1], vcc
	s_cbranch_execz .LBB0_19
; %bb.18:
	ds_read_b128 v[112:115], v143 offset:2800
	ds_read_b128 v[120:123], v143 offset:6720
	;; [unrolled: 1-line block ×5, first 2 shown]
.LBB0_19:
	s_or_b64 exec, exec, s[0:1]
	s_waitcnt lgkmcnt(2)
	v_mul_f64 v[145:146], v[46:47], v[126:127]
	s_waitcnt lgkmcnt(1)
	v_mul_f64 v[150:151], v[42:43], v[130:131]
	v_mul_f64 v[152:153], v[50:51], v[138:139]
	;; [unrolled: 1-line block ×4, first 2 shown]
	s_waitcnt lgkmcnt(0)
	v_mul_f64 v[154:155], v[38:39], v[132:133]
	v_mul_f64 v[42:43], v[42:43], v[128:129]
	;; [unrolled: 1-line block ×3, first 2 shown]
	v_fma_f64 v[124:125], v[44:45], v[124:125], v[145:146]
	v_fma_f64 v[145:146], v[40:41], v[128:129], v[150:151]
	;; [unrolled: 1-line block ×3, first 2 shown]
	v_fma_f64 v[48:49], v[48:49], v[138:139], -v[50:51]
	v_fma_f64 v[44:45], v[44:45], v[126:127], -v[46:47]
	;; [unrolled: 1-line block ×4, first 2 shown]
	v_fma_f64 v[38:39], v[36:37], v[132:133], v[38:39]
	s_mov_b32 s0, 0x134454ff
	v_add_f64 v[134:135], v[124:125], v[145:146]
	v_add_f64 v[36:37], v[116:117], v[128:129]
	s_mov_b32 s1, 0xbfee6f0e
	v_add_f64 v[130:131], v[128:129], -v[124:125]
	v_add_f64 v[46:47], v[48:49], -v[50:51]
	;; [unrolled: 1-line block ×4, first 2 shown]
	s_mov_b32 s2, 0x4755a5e
	v_fma_f64 v[40:41], v[134:135], -0.5, v[116:117]
	v_add_f64 v[134:135], v[128:129], v[38:39]
	v_add_f64 v[36:37], v[36:37], v[124:125]
	s_mov_b32 s3, 0xbfe2cf23
	v_add_f64 v[154:155], v[48:49], v[50:51]
	s_mov_b32 s13, 0x3fee6f0e
	;; [unrolled: 2-line block ×3, first 2 shown]
	v_fma_f64 v[136:137], v[46:47], s[0:1], v[40:41]
	v_fma_f64 v[116:117], v[134:135], -0.5, v[116:117]
	v_add_f64 v[36:37], v[36:37], v[145:146]
	v_add_f64 v[134:135], v[44:45], v[42:43]
	v_fma_f64 v[150:151], v[46:47], s[12:13], v[40:41]
	v_add_f64 v[152:153], v[118:119], v[48:49]
	v_add_f64 v[138:139], v[124:125], -v[128:129]
	v_add_f64 v[124:125], v[124:125], -v[145:146]
	v_fma_f64 v[132:133], v[126:127], s[2:3], v[136:137]
	v_add_f64 v[136:137], v[145:146], -v[38:39]
	v_add_f64 v[36:37], v[36:37], v[38:39]
	v_add_f64 v[38:39], v[128:129], -v[38:39]
	s_mov_b32 s15, 0x3fe2cf23
	s_mov_b32 s14, s2
	v_fma_f64 v[156:157], v[126:127], s[12:13], v[116:117]
	v_fma_f64 v[128:129], v[126:127], s[14:15], v[150:151]
	v_fma_f64 v[40:41], v[130:131], s[4:5], v[132:133]
	v_fma_f64 v[132:133], v[134:135], -0.5, v[118:119]
	v_fma_f64 v[118:119], v[154:155], -0.5, v[118:119]
	v_fma_f64 v[116:117], v[126:127], s[0:1], v[116:117]
	v_add_f64 v[126:127], v[152:153], v[44:45]
	v_add_f64 v[136:137], v[138:139], v[136:137]
	v_add_f64 v[145:146], v[48:49], -v[44:45]
	v_add_f64 v[150:151], v[50:51], -v[42:43]
	;; [unrolled: 1-line block ×3, first 2 shown]
	v_fma_f64 v[138:139], v[38:39], s[12:13], v[132:133]
	v_fma_f64 v[152:153], v[124:125], s[0:1], v[118:119]
	v_add_f64 v[48:49], v[42:43], -v[50:51]
	v_fma_f64 v[118:119], v[124:125], s[12:13], v[118:119]
	v_fma_f64 v[132:133], v[38:39], s[0:1], v[132:133]
	v_add_f64 v[42:43], v[126:127], v[42:43]
	v_fma_f64 v[134:135], v[46:47], s[2:3], v[156:157]
	v_fma_f64 v[46:47], v[46:47], s[14:15], v[116:117]
	;; [unrolled: 1-line block ×3, first 2 shown]
	v_add_f64 v[138:139], v[145:146], v[150:151]
	v_fma_f64 v[145:146], v[38:39], s[14:15], v[152:153]
	v_add_f64 v[150:151], v[44:45], v[48:49]
	v_fma_f64 v[118:119], v[38:39], s[2:3], v[118:119]
	v_fma_f64 v[124:125], v[124:125], s[2:3], v[132:133]
	v_add_f64 v[38:39], v[42:43], v[50:51]
	v_fma_f64 v[48:49], v[136:137], s[4:5], v[134:135]
	v_fma_f64 v[116:117], v[136:137], s[4:5], v[46:47]
	;; [unrolled: 1-line block ×7, first 2 shown]
	s_barrier
	ds_write_b128 v149, v[36:39]
	ds_write_b128 v149, v[40:43] offset:80
	ds_write_b128 v149, v[48:51] offset:160
	;; [unrolled: 1-line block ×4, first 2 shown]
	s_and_saveexec_b64 s[16:17], vcc
	s_cbranch_execz .LBB0_21
; %bb.20:
	v_mul_f64 v[38:39], v[22:23], v[120:121]
	v_mul_f64 v[40:41], v[34:35], v[108:109]
	;; [unrolled: 1-line block ×8, first 2 shown]
	v_fma_f64 v[38:39], v[20:21], v[122:123], -v[38:39]
	v_fma_f64 v[40:41], v[32:33], v[110:111], -v[40:41]
	;; [unrolled: 1-line block ×4, first 2 shown]
	v_fma_f64 v[28:29], v[28:29], v[100:101], v[30:31]
	v_fma_f64 v[24:25], v[24:25], v[104:105], v[26:27]
	;; [unrolled: 1-line block ×4, first 2 shown]
	v_add_f64 v[100:101], v[114:115], v[38:39]
	v_add_f64 v[22:23], v[38:39], v[40:41]
	v_add_f64 v[26:27], v[36:37], -v[38:39]
	v_add_f64 v[46:47], v[36:37], v[42:43]
	v_add_f64 v[30:31], v[42:43], -v[40:41]
	v_add_f64 v[34:35], v[28:29], -v[24:25]
	;; [unrolled: 1-line block ×5, first 2 shown]
	v_fma_f64 v[22:23], v[22:23], -0.5, v[114:115]
	v_add_f64 v[106:107], v[20:21], v[32:33]
	v_fma_f64 v[46:47], v[46:47], -0.5, v[114:115]
	v_add_f64 v[114:115], v[28:29], v[24:25]
	v_add_f64 v[116:117], v[112:113], v[20:21]
	;; [unrolled: 1-line block ×3, first 2 shown]
	v_add_f64 v[38:39], v[38:39], -v[40:41]
	v_add_f64 v[110:111], v[36:37], -v[42:43]
	v_fma_f64 v[108:109], v[34:35], s[12:13], v[22:23]
	v_fma_f64 v[22:23], v[34:35], s[0:1], v[22:23]
	;; [unrolled: 1-line block ×4, first 2 shown]
	v_add_f64 v[36:37], v[100:101], v[36:37]
	v_fma_f64 v[100:101], v[114:115], -0.5, v[112:113]
	v_add_f64 v[48:49], v[48:49], v[50:51]
	v_fma_f64 v[50:51], v[106:107], -0.5, v[112:113]
	v_fma_f64 v[108:109], v[44:45], s[2:3], v[108:109]
	v_fma_f64 v[44:45], v[44:45], s[14:15], v[22:23]
	v_add_f64 v[102:103], v[28:29], -v[20:21]
	v_add_f64 v[20:21], v[20:21], -v[28:29]
	v_add_f64 v[28:29], v[116:117], v[28:29]
	v_fma_f64 v[30:31], v[34:35], s[2:3], v[30:31]
	v_fma_f64 v[34:35], v[34:35], s[14:15], v[46:47]
	v_fma_f64 v[46:47], v[38:39], s[0:1], v[100:101]
	v_fma_f64 v[22:23], v[26:27], s[4:5], v[108:109]
	v_fma_f64 v[26:27], v[26:27], s[4:5], v[44:45]
	v_add_f64 v[44:45], v[32:33], -v[24:25]
	v_add_f64 v[104:105], v[24:25], -v[32:33]
	v_fma_f64 v[106:107], v[110:111], s[12:13], v[50:51]
	v_fma_f64 v[50:51], v[110:111], s[0:1], v[50:51]
	v_fma_f64 v[100:101], v[38:39], s[12:13], v[100:101]
	v_add_f64 v[36:37], v[36:37], v[42:43]
	v_fma_f64 v[34:35], v[48:49], s[4:5], v[34:35]
	v_fma_f64 v[30:31], v[48:49], s[4:5], v[30:31]
	v_add_f64 v[44:45], v[20:21], v[44:45]
	v_add_f64 v[20:21], v[28:29], v[24:25]
	v_fma_f64 v[24:25], v[110:111], s[2:3], v[46:47]
	v_add_f64 v[42:43], v[102:103], v[104:105]
	v_fma_f64 v[28:29], v[38:39], s[2:3], v[106:107]
	v_fma_f64 v[46:47], v[38:39], s[14:15], v[50:51]
	;; [unrolled: 1-line block ×3, first 2 shown]
	v_add_f64 v[38:39], v[36:37], v[40:41]
	v_lshlrev_b32_e32 v40, 4, v147
	v_add_f64 v[36:37], v[20:21], v[32:33]
	v_fma_f64 v[32:33], v[44:45], s[4:5], v[24:25]
	v_fma_f64 v[24:25], v[42:43], s[4:5], v[28:29]
	;; [unrolled: 1-line block ×4, first 2 shown]
	ds_write_b128 v40, v[36:39]
	ds_write_b128 v40, v[32:35] offset:80
	ds_write_b128 v40, v[24:27] offset:160
	;; [unrolled: 1-line block ×4, first 2 shown]
.LBB0_21:
	s_or_b64 exec, exec, s[16:17]
	s_waitcnt lgkmcnt(0)
	s_barrier
	ds_read_b128 v[20:23], v143 offset:2800
	ds_read_b128 v[24:27], v143 offset:5600
	;; [unrolled: 1-line block ×3, first 2 shown]
	ds_read_b128 v[32:35], v143
	ds_read_b128 v[36:39], v143 offset:11200
	ds_read_b128 v[40:43], v143 offset:14000
	;; [unrolled: 1-line block ×3, first 2 shown]
	s_mov_b32 s2, 0x37e14327
	s_waitcnt lgkmcnt(6)
	v_mul_f64 v[48:49], v[66:67], v[22:23]
	v_mul_f64 v[50:51], v[66:67], v[20:21]
	s_waitcnt lgkmcnt(5)
	v_mul_f64 v[66:67], v[62:63], v[26:27]
	v_mul_f64 v[62:63], v[62:63], v[24:25]
	s_mov_b32 s0, 0x36b3c0b5
	s_mov_b32 s12, 0xe976ee23
	s_mov_b32 s3, 0x3fe948f6
	s_mov_b32 s1, 0x3fac98ee
	v_fma_f64 v[20:21], v[64:65], v[20:21], v[48:49]
	v_fma_f64 v[22:23], v[64:65], v[22:23], -v[50:51]
	s_waitcnt lgkmcnt(0)
	v_mul_f64 v[48:49], v[70:71], v[46:47]
	v_fma_f64 v[26:27], v[60:61], v[26:27], -v[62:63]
	v_mul_f64 v[50:51], v[70:71], v[44:45]
	v_mul_f64 v[62:63], v[74:75], v[42:43]
	;; [unrolled: 1-line block ×3, first 2 shown]
	v_fma_f64 v[24:25], v[60:61], v[24:25], v[66:67]
	v_mul_f64 v[60:61], v[58:59], v[30:31]
	v_mul_f64 v[58:59], v[58:59], v[28:29]
	v_mul_f64 v[66:67], v[54:55], v[38:39]
	v_mul_f64 v[54:55], v[54:55], v[36:37]
	v_fma_f64 v[44:45], v[68:69], v[44:45], v[48:49]
	v_fma_f64 v[46:47], v[68:69], v[46:47], -v[50:51]
	v_fma_f64 v[40:41], v[72:73], v[40:41], v[62:63]
	v_fma_f64 v[42:43], v[72:73], v[42:43], -v[64:65]
	;; [unrolled: 2-line block ×4, first 2 shown]
	v_add_f64 v[48:49], v[20:21], v[44:45]
	v_add_f64 v[50:51], v[22:23], v[46:47]
	v_add_f64 v[20:21], v[20:21], -v[44:45]
	v_add_f64 v[22:23], v[22:23], -v[46:47]
	v_add_f64 v[44:45], v[24:25], v[40:41]
	v_add_f64 v[46:47], v[26:27], v[42:43]
	v_add_f64 v[24:25], v[24:25], -v[40:41]
	v_add_f64 v[26:27], v[26:27], -v[42:43]
	;; [unrolled: 4-line block ×4, first 2 shown]
	v_add_f64 v[48:49], v[48:49], -v[40:41]
	v_add_f64 v[50:51], v[50:51], -v[42:43]
	;; [unrolled: 1-line block ×4, first 2 shown]
	v_add_f64 v[56:57], v[28:29], v[24:25]
	v_add_f64 v[58:59], v[30:31], v[26:27]
	v_add_f64 v[60:61], v[28:29], -v[24:25]
	v_add_f64 v[62:63], v[30:31], -v[26:27]
	v_add_f64 v[36:37], v[40:41], v[36:37]
	v_add_f64 v[38:39], v[42:43], v[38:39]
	v_add_f64 v[24:25], v[24:25], -v[20:21]
	v_add_f64 v[26:27], v[26:27], -v[22:23]
	s_mov_b32 s13, 0x3fe11646
	s_mov_b32 s4, 0x429ad128
	v_add_f64 v[28:29], v[20:21], -v[28:29]
	v_add_f64 v[30:31], v[22:23], -v[30:31]
	v_add_f64 v[40:41], v[56:57], v[20:21]
	v_add_f64 v[42:43], v[58:59], v[22:23]
	v_add_f64 v[20:21], v[32:33], v[36:37]
	v_add_f64 v[22:23], v[34:35], v[38:39]
	v_mul_f64 v[32:33], v[48:49], s[2:3]
	v_mul_f64 v[34:35], v[50:51], s[2:3]
	;; [unrolled: 1-line block ×6, first 2 shown]
	s_mov_b32 s5, 0xbfebfeb5
	v_mul_f64 v[60:61], v[24:25], s[4:5]
	v_mul_f64 v[62:63], v[26:27], s[4:5]
	s_mov_b32 s14, 0xaaaaaaaa
	s_mov_b32 s16, 0x5476071b
	;; [unrolled: 1-line block ×8, first 2 shown]
	v_fma_f64 v[36:37], v[36:37], s[14:15], v[20:21]
	v_fma_f64 v[38:39], v[38:39], s[14:15], v[22:23]
	;; [unrolled: 1-line block ×4, first 2 shown]
	v_fma_f64 v[48:49], v[52:53], s[16:17], -v[48:49]
	v_fma_f64 v[50:51], v[54:55], s[16:17], -v[50:51]
	;; [unrolled: 1-line block ×4, first 2 shown]
	v_fma_f64 v[52:53], v[28:29], s[20:21], v[56:57]
	v_fma_f64 v[54:55], v[30:31], s[20:21], v[58:59]
	s_mov_b32 s25, 0x3fd5d0dc
	s_mov_b32 s24, s20
	v_fma_f64 v[28:29], v[28:29], s[24:25], -v[60:61]
	v_fma_f64 v[30:31], v[30:31], s[24:25], -v[62:63]
	;; [unrolled: 1-line block ×4, first 2 shown]
	s_mov_b32 s22, 0x37c3f68c
	s_mov_b32 s23, 0xbfdc38aa
	v_add_f64 v[44:45], v[44:45], v[36:37]
	v_add_f64 v[46:47], v[46:47], v[38:39]
	v_fma_f64 v[54:55], v[42:43], s[22:23], v[54:55]
	v_fma_f64 v[52:53], v[40:41], s[22:23], v[52:53]
	v_add_f64 v[56:57], v[32:33], v[36:37]
	v_add_f64 v[58:59], v[34:35], v[38:39]
	v_fma_f64 v[60:61], v[42:43], s[22:23], v[30:31]
	v_fma_f64 v[62:63], v[40:41], s[22:23], v[28:29]
	;; [unrolled: 4-line block ×3, first 2 shown]
	v_add_f64 v[24:25], v[54:55], v[44:45]
	v_add_f64 v[26:27], v[46:47], -v[52:53]
	v_add_f64 v[28:29], v[60:61], v[56:57]
	v_add_f64 v[30:31], v[58:59], -v[62:63]
	v_add_f64 v[40:41], v[56:57], -v[60:61]
	v_add_f64 v[42:43], v[62:63], v[58:59]
	v_add_f64 v[32:33], v[48:49], -v[36:37]
	v_add_f64 v[34:35], v[38:39], v[50:51]
	v_add_f64 v[36:37], v[36:37], v[48:49]
	v_add_f64 v[38:39], v[50:51], -v[38:39]
	v_add_f64 v[44:45], v[44:45], -v[54:55]
	v_add_f64 v[46:47], v[52:53], v[46:47]
	s_barrier
	ds_write_b128 v148, v[20:23]
	ds_write_b128 v148, v[24:27] offset:400
	ds_write_b128 v148, v[28:31] offset:800
	;; [unrolled: 1-line block ×6, first 2 shown]
	s_waitcnt lgkmcnt(0)
	s_barrier
	ds_read_b128 v[20:23], v143 offset:2800
	ds_read_b128 v[24:27], v143 offset:5600
	;; [unrolled: 1-line block ×3, first 2 shown]
	ds_read_b128 v[32:35], v143
	ds_read_b128 v[36:39], v143 offset:11200
	ds_read_b128 v[40:43], v143 offset:14000
	ds_read_b128 v[44:47], v143 offset:16800
	s_waitcnt lgkmcnt(6)
	v_mul_f64 v[48:49], v[90:91], v[22:23]
	v_mul_f64 v[50:51], v[90:91], v[20:21]
	s_waitcnt lgkmcnt(5)
	v_mul_f64 v[52:53], v[86:87], v[26:27]
	v_mul_f64 v[54:55], v[86:87], v[24:25]
	;; [unrolled: 3-line block ×3, first 2 shown]
	v_mul_f64 v[60:61], v[78:79], v[38:39]
	v_mul_f64 v[62:63], v[78:79], v[36:37]
	v_fma_f64 v[20:21], v[88:89], v[20:21], v[48:49]
	v_fma_f64 v[22:23], v[88:89], v[22:23], -v[50:51]
	s_waitcnt lgkmcnt(0)
	v_mul_f64 v[48:49], v[94:95], v[46:47]
	v_mul_f64 v[50:51], v[94:95], v[44:45]
	v_fma_f64 v[24:25], v[84:85], v[24:25], v[52:53]
	v_fma_f64 v[26:27], v[84:85], v[26:27], -v[54:55]
	v_mul_f64 v[52:53], v[82:83], v[30:31]
	v_mul_f64 v[54:55], v[82:83], v[28:29]
	v_fma_f64 v[40:41], v[96:97], v[40:41], v[56:57]
	v_fma_f64 v[42:43], v[96:97], v[42:43], -v[58:59]
	v_fma_f64 v[44:45], v[92:93], v[44:45], v[48:49]
	v_fma_f64 v[46:47], v[92:93], v[46:47], -v[50:51]
	;; [unrolled: 2-line block ×4, first 2 shown]
	v_add_f64 v[48:49], v[20:21], v[44:45]
	v_add_f64 v[50:51], v[22:23], v[46:47]
	v_add_f64 v[20:21], v[20:21], -v[44:45]
	v_add_f64 v[22:23], v[22:23], -v[46:47]
	v_add_f64 v[44:45], v[24:25], v[40:41]
	v_add_f64 v[46:47], v[26:27], v[42:43]
	v_add_f64 v[24:25], v[24:25], -v[40:41]
	v_add_f64 v[26:27], v[26:27], -v[42:43]
	;; [unrolled: 4-line block ×4, first 2 shown]
	v_add_f64 v[48:49], v[48:49], -v[40:41]
	v_add_f64 v[50:51], v[50:51], -v[42:43]
	v_add_f64 v[44:45], v[40:41], -v[44:45]
	v_add_f64 v[46:47], v[42:43], -v[46:47]
	v_add_f64 v[56:57], v[28:29], v[24:25]
	v_add_f64 v[58:59], v[30:31], v[26:27]
	v_add_f64 v[60:61], v[28:29], -v[24:25]
	v_add_f64 v[62:63], v[30:31], -v[26:27]
	v_add_f64 v[36:37], v[40:41], v[36:37]
	v_add_f64 v[38:39], v[42:43], v[38:39]
	v_add_f64 v[24:25], v[24:25], -v[20:21]
	v_add_f64 v[26:27], v[26:27], -v[22:23]
	;; [unrolled: 1-line block ×4, first 2 shown]
	v_add_f64 v[40:41], v[56:57], v[20:21]
	v_add_f64 v[42:43], v[58:59], v[22:23]
	;; [unrolled: 1-line block ×4, first 2 shown]
	v_mul_f64 v[32:33], v[48:49], s[2:3]
	v_mul_f64 v[34:35], v[50:51], s[2:3]
	;; [unrolled: 1-line block ×8, first 2 shown]
	v_fma_f64 v[36:37], v[36:37], s[14:15], v[20:21]
	v_fma_f64 v[38:39], v[38:39], s[14:15], v[22:23]
	;; [unrolled: 1-line block ×4, first 2 shown]
	v_fma_f64 v[48:49], v[52:53], s[16:17], -v[48:49]
	v_fma_f64 v[50:51], v[54:55], s[16:17], -v[50:51]
	;; [unrolled: 1-line block ×4, first 2 shown]
	v_fma_f64 v[52:53], v[28:29], s[20:21], v[56:57]
	v_fma_f64 v[54:55], v[30:31], s[20:21], v[58:59]
	v_fma_f64 v[28:29], v[28:29], s[24:25], -v[60:61]
	v_fma_f64 v[30:31], v[30:31], s[24:25], -v[62:63]
	;; [unrolled: 1-line block ×4, first 2 shown]
	v_add_f64 v[44:45], v[44:45], v[36:37]
	v_add_f64 v[46:47], v[46:47], v[38:39]
	v_fma_f64 v[52:53], v[40:41], s[22:23], v[52:53]
	v_fma_f64 v[54:55], v[42:43], s[22:23], v[54:55]
	v_add_f64 v[56:57], v[32:33], v[36:37]
	v_add_f64 v[58:59], v[34:35], v[38:39]
	v_fma_f64 v[60:61], v[42:43], s[22:23], v[30:31]
	v_fma_f64 v[62:63], v[40:41], s[22:23], v[28:29]
	;; [unrolled: 4-line block ×3, first 2 shown]
	v_add_f64 v[24:25], v[54:55], v[44:45]
	v_add_f64 v[26:27], v[46:47], -v[52:53]
	v_add_f64 v[28:29], v[60:61], v[56:57]
	v_add_f64 v[30:31], v[58:59], -v[62:63]
	v_add_f64 v[40:41], v[56:57], -v[60:61]
	v_add_f64 v[42:43], v[62:63], v[58:59]
	v_add_f64 v[32:33], v[48:49], -v[36:37]
	v_add_f64 v[34:35], v[38:39], v[50:51]
	v_add_f64 v[36:37], v[36:37], v[48:49]
	v_add_f64 v[38:39], v[50:51], -v[38:39]
	v_add_f64 v[44:45], v[44:45], -v[54:55]
	v_add_f64 v[46:47], v[52:53], v[46:47]
	ds_write_b128 v143, v[20:23]
	ds_write_b128 v143, v[24:27] offset:2800
	ds_write_b128 v143, v[28:31] offset:5600
	;; [unrolled: 1-line block ×6, first 2 shown]
	s_waitcnt lgkmcnt(0)
	s_barrier
	ds_read_b128 v[20:23], v143
	ds_read_b128 v[24:27], v143 offset:3920
	v_mad_u64_u32 v[28:29], s[0:1], s10, v142, 0
	s_mov_b32 s2, 0xe03c2fa6
	s_waitcnt lgkmcnt(1)
	v_mul_f64 v[30:31], v[18:19], v[22:23]
	v_mul_f64 v[18:19], v[18:19], v[20:21]
	s_mov_b32 s3, 0x3f4abfd7
	v_mad_u64_u32 v[32:33], s[0:1], s11, v142, v[29:30]
	v_mad_u64_u32 v[33:34], s[0:1], s8, v144, 0
	v_fma_f64 v[20:21], v[16:17], v[20:21], v[30:31]
	v_fma_f64 v[18:19], v[16:17], v[22:23], -v[18:19]
	v_mov_b32_e32 v16, v34
	v_mad_u64_u32 v[22:23], s[0:1], s9, v144, v[16:17]
	v_mov_b32_e32 v29, v32
	v_mov_b32_e32 v34, v22
	s_waitcnt lgkmcnt(0)
	v_mul_f64 v[22:23], v[10:11], v[26:27]
	v_mul_f64 v[10:11], v[10:11], v[24:25]
	;; [unrolled: 1-line block ×4, first 2 shown]
	v_lshlrev_b64 v[20:21], 4, v[28:29]
	v_mov_b32_e32 v28, s7
	v_add_co_u32_e64 v29, s[0:1], s6, v20
	v_fma_f64 v[22:23], v[8:9], v[24:25], v[22:23]
	v_fma_f64 v[24:25], v[8:9], v[26:27], -v[10:11]
	ds_read_b128 v[8:11], v143 offset:7840
	v_addc_co_u32_e64 v30, s[0:1], v28, v21, s[0:1]
	v_lshlrev_b64 v[20:21], 4, v[33:34]
	v_add_co_u32_e64 v28, s[0:1], v29, v20
	v_addc_co_u32_e64 v29, s[0:1], v30, v21, s[0:1]
	global_store_dwordx4 v[28:29], v[16:19], off
	s_mul_i32 s0, s9, 0xf5
	v_mul_f64 v[16:17], v[22:23], s[2:3]
	ds_read_b128 v[20:23], v143 offset:11760
	s_waitcnt lgkmcnt(1)
	v_mul_f64 v[30:31], v[2:3], v[10:11]
	v_mul_f64 v[2:3], v[2:3], v[8:9]
	;; [unrolled: 1-line block ×3, first 2 shown]
	ds_read_b128 v[24:27], v143 offset:15680
	s_mul_hi_u32 s1, s8, 0xf5
	s_add_i32 s1, s1, s0
	s_mul_i32 s0, s8, 0xf5
	s_lshl_b64 s[4:5], s[0:1], 4
	v_fma_f64 v[8:9], v[0:1], v[8:9], v[30:31]
	v_fma_f64 v[2:3], v[0:1], v[10:11], -v[2:3]
	s_waitcnt lgkmcnt(1)
	v_mul_f64 v[10:11], v[6:7], v[22:23]
	v_mul_f64 v[6:7], v[6:7], v[20:21]
	s_waitcnt lgkmcnt(0)
	v_mul_f64 v[30:31], v[14:15], v[26:27]
	v_mul_f64 v[14:15], v[14:15], v[24:25]
	v_mov_b32_e32 v32, s5
	v_add_co_u32_e64 v28, s[0:1], s4, v28
	v_mul_f64 v[0:1], v[8:9], s[2:3]
	v_fma_f64 v[8:9], v[4:5], v[20:21], v[10:11]
	v_fma_f64 v[6:7], v[4:5], v[22:23], -v[6:7]
	v_fma_f64 v[10:11], v[12:13], v[24:25], v[30:31]
	v_fma_f64 v[12:13], v[12:13], v[26:27], -v[14:15]
	v_mul_f64 v[2:3], v[2:3], s[2:3]
	v_addc_co_u32_e64 v29, s[0:1], v29, v32, s[0:1]
	v_add_co_u32_e64 v14, s[0:1], s4, v28
	v_mul_f64 v[4:5], v[8:9], s[2:3]
	v_mul_f64 v[6:7], v[6:7], s[2:3]
	;; [unrolled: 1-line block ×4, first 2 shown]
	v_addc_co_u32_e64 v15, s[0:1], v29, v32, s[0:1]
	global_store_dwordx4 v[28:29], v[16:19], off
	global_store_dwordx4 v[14:15], v[0:3], off
	s_nop 0
	v_add_co_u32_e64 v0, s[0:1], s4, v14
	v_addc_co_u32_e64 v1, s[0:1], v15, v32, s[0:1]
	global_store_dwordx4 v[0:1], v[4:7], off
	v_add_co_u32_e64 v0, s[0:1], s4, v0
	v_addc_co_u32_e64 v1, s[0:1], v1, v32, s[0:1]
	global_store_dwordx4 v[0:1], v[8:11], off
	s_and_b64 exec, exec, vcc
	s_cbranch_execz .LBB0_23
; %bb.22:
	s_movk_i32 s0, 0x1000
	v_add_co_u32_e32 v14, vcc, s0, v140
	v_addc_co_u32_e32 v15, vcc, 0, v141, vcc
	s_movk_i32 s0, 0x2000
	v_add_co_u32_e32 v16, vcc, s0, v140
	v_addc_co_u32_e32 v17, vcc, 0, v141, vcc
	s_movk_i32 s0, 0x3000
	global_load_dwordx4 v[2:5], v[140:141], off offset:2800
	global_load_dwordx4 v[6:9], v[14:15], off offset:2624
	;; [unrolled: 1-line block ×3, first 2 shown]
	v_add_co_u32_e32 v14, vcc, s0, v140
	v_addc_co_u32_e32 v15, vcc, 0, v141, vcc
	s_movk_i32 s0, 0x4000
	v_add_co_u32_e32 v18, vcc, s0, v140
	global_load_dwordx4 v[14:17], v[14:15], off offset:2272
	v_addc_co_u32_e32 v19, vcc, 0, v141, vcc
	global_load_dwordx4 v[18:21], v[18:19], off offset:2096
	ds_read_b128 v[22:25], v143 offset:2800
	ds_read_b128 v[26:29], v143 offset:6720
	v_mov_b32_e32 v30, 0xffffcdb0
	v_mad_u64_u32 v[42:43], s[0:1], s8, v30, v[0:1]
	ds_read_b128 v[30:33], v143 offset:10640
	ds_read_b128 v[34:37], v143 offset:14560
	ds_read_b128 v[38:41], v143 offset:18480
	s_mul_i32 s6, s9, 0xffffcdb0
	s_sub_i32 s0, s6, s8
	v_mov_b32_e32 v58, s5
	v_add_u32_e32 v43, s0, v43
	v_add_co_u32_e32 v44, vcc, s4, v42
	v_addc_co_u32_e32 v45, vcc, v43, v58, vcc
	v_add_co_u32_e32 v46, vcc, s4, v44
	v_addc_co_u32_e32 v47, vcc, v45, v58, vcc
	;; [unrolled: 2-line block ×3, first 2 shown]
	s_waitcnt vmcnt(4) lgkmcnt(4)
	v_mul_f64 v[0:1], v[24:25], v[4:5]
	v_mul_f64 v[4:5], v[22:23], v[4:5]
	s_waitcnt vmcnt(3) lgkmcnt(3)
	v_mul_f64 v[50:51], v[28:29], v[8:9]
	v_mul_f64 v[8:9], v[26:27], v[8:9]
	;; [unrolled: 3-line block ×3, first 2 shown]
	v_fma_f64 v[0:1], v[22:23], v[2:3], v[0:1]
	s_waitcnt vmcnt(1) lgkmcnt(1)
	v_mul_f64 v[54:55], v[36:37], v[16:17]
	v_mul_f64 v[16:17], v[34:35], v[16:17]
	v_fma_f64 v[2:3], v[2:3], v[24:25], -v[4:5]
	s_waitcnt vmcnt(0) lgkmcnt(0)
	v_mul_f64 v[56:57], v[40:41], v[20:21]
	v_mul_f64 v[20:21], v[38:39], v[20:21]
	v_fma_f64 v[4:5], v[26:27], v[6:7], v[50:51]
	v_fma_f64 v[6:7], v[6:7], v[28:29], -v[8:9]
	v_fma_f64 v[8:9], v[30:31], v[10:11], v[52:53]
	v_fma_f64 v[10:11], v[10:11], v[32:33], -v[12:13]
	;; [unrolled: 2-line block ×4, first 2 shown]
	v_mul_f64 v[0:1], v[0:1], s[2:3]
	v_mul_f64 v[2:3], v[2:3], s[2:3]
	;; [unrolled: 1-line block ×10, first 2 shown]
	v_add_co_u32_e32 v20, vcc, s4, v48
	v_addc_co_u32_e32 v21, vcc, v49, v58, vcc
	global_store_dwordx4 v[42:43], v[0:3], off
	global_store_dwordx4 v[44:45], v[4:7], off
	;; [unrolled: 1-line block ×5, first 2 shown]
.LBB0_23:
	s_endpgm
	.section	.rodata,"a",@progbits
	.p2align	6, 0x0
	.amdhsa_kernel bluestein_single_fwd_len1225_dim1_dp_op_CI_CI
		.amdhsa_group_segment_fixed_size 19600
		.amdhsa_private_segment_fixed_size 0
		.amdhsa_kernarg_size 104
		.amdhsa_user_sgpr_count 6
		.amdhsa_user_sgpr_private_segment_buffer 1
		.amdhsa_user_sgpr_dispatch_ptr 0
		.amdhsa_user_sgpr_queue_ptr 0
		.amdhsa_user_sgpr_kernarg_segment_ptr 1
		.amdhsa_user_sgpr_dispatch_id 0
		.amdhsa_user_sgpr_flat_scratch_init 0
		.amdhsa_user_sgpr_private_segment_size 0
		.amdhsa_uses_dynamic_stack 0
		.amdhsa_system_sgpr_private_segment_wavefront_offset 0
		.amdhsa_system_sgpr_workgroup_id_x 1
		.amdhsa_system_sgpr_workgroup_id_y 0
		.amdhsa_system_sgpr_workgroup_id_z 0
		.amdhsa_system_sgpr_workgroup_info 0
		.amdhsa_system_vgpr_workitem_id 0
		.amdhsa_next_free_vgpr 186
		.amdhsa_next_free_sgpr 34
		.amdhsa_reserve_vcc 1
		.amdhsa_reserve_flat_scratch 0
		.amdhsa_float_round_mode_32 0
		.amdhsa_float_round_mode_16_64 0
		.amdhsa_float_denorm_mode_32 3
		.amdhsa_float_denorm_mode_16_64 3
		.amdhsa_dx10_clamp 1
		.amdhsa_ieee_mode 1
		.amdhsa_fp16_overflow 0
		.amdhsa_exception_fp_ieee_invalid_op 0
		.amdhsa_exception_fp_denorm_src 0
		.amdhsa_exception_fp_ieee_div_zero 0
		.amdhsa_exception_fp_ieee_overflow 0
		.amdhsa_exception_fp_ieee_underflow 0
		.amdhsa_exception_fp_ieee_inexact 0
		.amdhsa_exception_int_div_zero 0
	.end_amdhsa_kernel
	.text
.Lfunc_end0:
	.size	bluestein_single_fwd_len1225_dim1_dp_op_CI_CI, .Lfunc_end0-bluestein_single_fwd_len1225_dim1_dp_op_CI_CI
                                        ; -- End function
	.section	.AMDGPU.csdata,"",@progbits
; Kernel info:
; codeLenInByte = 12728
; NumSgprs: 38
; NumVgprs: 186
; ScratchSize: 0
; MemoryBound: 0
; FloatMode: 240
; IeeeMode: 1
; LDSByteSize: 19600 bytes/workgroup (compile time only)
; SGPRBlocks: 4
; VGPRBlocks: 46
; NumSGPRsForWavesPerEU: 38
; NumVGPRsForWavesPerEU: 186
; Occupancy: 1
; WaveLimiterHint : 1
; COMPUTE_PGM_RSRC2:SCRATCH_EN: 0
; COMPUTE_PGM_RSRC2:USER_SGPR: 6
; COMPUTE_PGM_RSRC2:TRAP_HANDLER: 0
; COMPUTE_PGM_RSRC2:TGID_X_EN: 1
; COMPUTE_PGM_RSRC2:TGID_Y_EN: 0
; COMPUTE_PGM_RSRC2:TGID_Z_EN: 0
; COMPUTE_PGM_RSRC2:TIDIG_COMP_CNT: 0
	.type	__hip_cuid_f061ecc80415e55,@object ; @__hip_cuid_f061ecc80415e55
	.section	.bss,"aw",@nobits
	.globl	__hip_cuid_f061ecc80415e55
__hip_cuid_f061ecc80415e55:
	.byte	0                               ; 0x0
	.size	__hip_cuid_f061ecc80415e55, 1

	.ident	"AMD clang version 19.0.0git (https://github.com/RadeonOpenCompute/llvm-project roc-6.4.0 25133 c7fe45cf4b819c5991fe208aaa96edf142730f1d)"
	.section	".note.GNU-stack","",@progbits
	.addrsig
	.addrsig_sym __hip_cuid_f061ecc80415e55
	.amdgpu_metadata
---
amdhsa.kernels:
  - .args:
      - .actual_access:  read_only
        .address_space:  global
        .offset:         0
        .size:           8
        .value_kind:     global_buffer
      - .actual_access:  read_only
        .address_space:  global
        .offset:         8
        .size:           8
        .value_kind:     global_buffer
      - .actual_access:  read_only
        .address_space:  global
        .offset:         16
        .size:           8
        .value_kind:     global_buffer
      - .actual_access:  read_only
        .address_space:  global
        .offset:         24
        .size:           8
        .value_kind:     global_buffer
      - .actual_access:  read_only
        .address_space:  global
        .offset:         32
        .size:           8
        .value_kind:     global_buffer
      - .offset:         40
        .size:           8
        .value_kind:     by_value
      - .address_space:  global
        .offset:         48
        .size:           8
        .value_kind:     global_buffer
      - .address_space:  global
        .offset:         56
        .size:           8
        .value_kind:     global_buffer
      - .address_space:  global
        .offset:         64
        .size:           8
        .value_kind:     global_buffer
      - .address_space:  global
        .offset:         72
        .size:           8
        .value_kind:     global_buffer
      - .offset:         80
        .size:           4
        .value_kind:     by_value
      - .address_space:  global
        .offset:         88
        .size:           8
        .value_kind:     global_buffer
      - .address_space:  global
        .offset:         96
        .size:           8
        .value_kind:     global_buffer
    .group_segment_fixed_size: 19600
    .kernarg_segment_align: 8
    .kernarg_segment_size: 104
    .language:       OpenCL C
    .language_version:
      - 2
      - 0
    .max_flat_workgroup_size: 175
    .name:           bluestein_single_fwd_len1225_dim1_dp_op_CI_CI
    .private_segment_fixed_size: 0
    .sgpr_count:     38
    .sgpr_spill_count: 0
    .symbol:         bluestein_single_fwd_len1225_dim1_dp_op_CI_CI.kd
    .uniform_work_group_size: 1
    .uses_dynamic_stack: false
    .vgpr_count:     186
    .vgpr_spill_count: 0
    .wavefront_size: 64
amdhsa.target:   amdgcn-amd-amdhsa--gfx906
amdhsa.version:
  - 1
  - 2
...

	.end_amdgpu_metadata
